;; amdgpu-corpus repo=ROCm/rocFFT kind=compiled arch=gfx1030 opt=O3
	.text
	.amdgcn_target "amdgcn-amd-amdhsa--gfx1030"
	.amdhsa_code_object_version 6
	.protected	fft_rtc_back_len110_factors_2_5_11_wgs_198_tpt_11_half_op_CI_CI_sbrr_dirReg ; -- Begin function fft_rtc_back_len110_factors_2_5_11_wgs_198_tpt_11_half_op_CI_CI_sbrr_dirReg
	.globl	fft_rtc_back_len110_factors_2_5_11_wgs_198_tpt_11_half_op_CI_CI_sbrr_dirReg
	.p2align	8
	.type	fft_rtc_back_len110_factors_2_5_11_wgs_198_tpt_11_half_op_CI_CI_sbrr_dirReg,@function
fft_rtc_back_len110_factors_2_5_11_wgs_198_tpt_11_half_op_CI_CI_sbrr_dirReg: ; @fft_rtc_back_len110_factors_2_5_11_wgs_198_tpt_11_half_op_CI_CI_sbrr_dirReg
; %bb.0:
	s_clause 0x1
	s_load_dwordx4 s[16:19], s[4:5], 0x18
	s_load_dwordx4 s[12:15], s[4:5], 0x0
	v_mul_u32_u24_e32 v1, 0x1746, v0
	v_mov_b32_e32 v5, 0
	v_mov_b32_e32 v3, 0
	v_mov_b32_e32 v4, 0
	s_load_dwordx4 s[8:11], s[4:5], 0x58
	s_waitcnt lgkmcnt(0)
	s_load_dwordx2 s[20:21], s[16:17], 0x0
	s_load_dwordx2 s[2:3], s[18:19], 0x0
	v_lshrrev_b32_e32 v1, 16, v1
	v_cmp_lt_u64_e64 s0, s[14:15], 2
	v_mov_b32_e32 v9, v4
	v_mov_b32_e32 v8, v3
	v_mad_u64_u32 v[1:2], null, s6, 18, v[1:2]
	v_mov_b32_e32 v2, v5
	s_and_b32 vcc_lo, exec_lo, s0
	v_mov_b32_e32 v21, v2
	v_mov_b32_e32 v20, v1
	s_cbranch_vccnz .LBB0_8
; %bb.1:
	s_load_dwordx2 s[0:1], s[4:5], 0x10
	v_mov_b32_e32 v3, 0
	v_mov_b32_e32 v4, 0
	s_add_u32 s6, s18, 8
	v_mov_b32_e32 v11, v2
	s_addc_u32 s7, s19, 0
	v_mov_b32_e32 v10, v1
	v_mov_b32_e32 v9, v4
	s_add_u32 s22, s16, 8
	v_mov_b32_e32 v8, v3
	s_addc_u32 s23, s17, 0
	s_mov_b64 s[26:27], 1
	s_waitcnt lgkmcnt(0)
	s_add_u32 s24, s0, 8
	s_addc_u32 s25, s1, 0
.LBB0_2:                                ; =>This Inner Loop Header: Depth=1
	s_load_dwordx2 s[28:29], s[24:25], 0x0
                                        ; implicit-def: $vgpr20_vgpr21
	s_mov_b32 s0, exec_lo
	s_waitcnt lgkmcnt(0)
	v_or_b32_e32 v6, s29, v11
	v_cmpx_ne_u64_e32 0, v[5:6]
	s_xor_b32 s1, exec_lo, s0
	s_cbranch_execz .LBB0_4
; %bb.3:                                ;   in Loop: Header=BB0_2 Depth=1
	v_cvt_f32_u32_e32 v2, s28
	v_cvt_f32_u32_e32 v6, s29
	s_sub_u32 s0, 0, s28
	s_subb_u32 s30, 0, s29
	v_fmac_f32_e32 v2, 0x4f800000, v6
	v_rcp_f32_e32 v2, v2
	v_mul_f32_e32 v2, 0x5f7ffffc, v2
	v_mul_f32_e32 v6, 0x2f800000, v2
	v_trunc_f32_e32 v6, v6
	v_fmac_f32_e32 v2, 0xcf800000, v6
	v_cvt_u32_f32_e32 v6, v6
	v_cvt_u32_f32_e32 v2, v2
	v_mul_lo_u32 v7, s0, v6
	v_mul_hi_u32 v12, s0, v2
	v_mul_lo_u32 v13, s30, v2
	v_add_nc_u32_e32 v7, v12, v7
	v_mul_lo_u32 v12, s0, v2
	v_add_nc_u32_e32 v7, v7, v13
	v_mul_hi_u32 v13, v2, v12
	v_mul_lo_u32 v14, v2, v7
	v_mul_hi_u32 v15, v2, v7
	v_mul_hi_u32 v16, v6, v12
	v_mul_lo_u32 v12, v6, v12
	v_mul_hi_u32 v17, v6, v7
	v_mul_lo_u32 v7, v6, v7
	v_add_co_u32 v13, vcc_lo, v13, v14
	v_add_co_ci_u32_e32 v14, vcc_lo, 0, v15, vcc_lo
	v_add_co_u32 v12, vcc_lo, v13, v12
	v_add_co_ci_u32_e32 v12, vcc_lo, v14, v16, vcc_lo
	v_add_co_ci_u32_e32 v13, vcc_lo, 0, v17, vcc_lo
	v_add_co_u32 v7, vcc_lo, v12, v7
	v_add_co_ci_u32_e32 v12, vcc_lo, 0, v13, vcc_lo
	v_add_co_u32 v2, vcc_lo, v2, v7
	v_add_co_ci_u32_e32 v6, vcc_lo, v6, v12, vcc_lo
	v_mul_hi_u32 v7, s0, v2
	v_mul_lo_u32 v13, s30, v2
	v_mul_lo_u32 v12, s0, v6
	v_add_nc_u32_e32 v7, v7, v12
	v_mul_lo_u32 v12, s0, v2
	v_add_nc_u32_e32 v7, v7, v13
	v_mul_hi_u32 v13, v2, v12
	v_mul_lo_u32 v14, v2, v7
	v_mul_hi_u32 v15, v2, v7
	v_mul_hi_u32 v16, v6, v12
	v_mul_lo_u32 v12, v6, v12
	v_mul_hi_u32 v17, v6, v7
	v_mul_lo_u32 v7, v6, v7
	v_add_co_u32 v13, vcc_lo, v13, v14
	v_add_co_ci_u32_e32 v14, vcc_lo, 0, v15, vcc_lo
	v_add_co_u32 v12, vcc_lo, v13, v12
	v_add_co_ci_u32_e32 v12, vcc_lo, v14, v16, vcc_lo
	v_add_co_ci_u32_e32 v13, vcc_lo, 0, v17, vcc_lo
	v_add_co_u32 v7, vcc_lo, v12, v7
	v_add_co_ci_u32_e32 v12, vcc_lo, 0, v13, vcc_lo
	v_add_co_u32 v2, vcc_lo, v2, v7
	v_add_co_ci_u32_e32 v14, vcc_lo, v6, v12, vcc_lo
	v_mul_hi_u32 v16, v10, v2
	v_mad_u64_u32 v[12:13], null, v11, v2, 0
	v_mad_u64_u32 v[6:7], null, v10, v14, 0
	v_mad_u64_u32 v[14:15], null, v11, v14, 0
	v_add_co_u32 v2, vcc_lo, v16, v6
	v_add_co_ci_u32_e32 v6, vcc_lo, 0, v7, vcc_lo
	v_add_co_u32 v2, vcc_lo, v2, v12
	v_add_co_ci_u32_e32 v2, vcc_lo, v6, v13, vcc_lo
	v_add_co_ci_u32_e32 v6, vcc_lo, 0, v15, vcc_lo
	v_add_co_u32 v2, vcc_lo, v2, v14
	v_add_co_ci_u32_e32 v12, vcc_lo, 0, v6, vcc_lo
	v_mul_lo_u32 v13, s29, v2
	v_mad_u64_u32 v[6:7], null, s28, v2, 0
	v_mul_lo_u32 v14, s28, v12
	v_sub_co_u32 v6, vcc_lo, v10, v6
	v_add3_u32 v7, v7, v14, v13
	v_sub_nc_u32_e32 v13, v11, v7
	v_subrev_co_ci_u32_e64 v13, s0, s29, v13, vcc_lo
	v_add_co_u32 v14, s0, v2, 2
	v_add_co_ci_u32_e64 v15, s0, 0, v12, s0
	v_sub_co_u32 v16, s0, v6, s28
	v_sub_co_ci_u32_e32 v7, vcc_lo, v11, v7, vcc_lo
	v_subrev_co_ci_u32_e64 v13, s0, 0, v13, s0
	v_cmp_le_u32_e32 vcc_lo, s28, v16
	v_cmp_eq_u32_e64 s0, s29, v7
	v_cndmask_b32_e64 v16, 0, -1, vcc_lo
	v_cmp_le_u32_e32 vcc_lo, s29, v13
	v_cndmask_b32_e64 v17, 0, -1, vcc_lo
	v_cmp_le_u32_e32 vcc_lo, s28, v6
	;; [unrolled: 2-line block ×3, first 2 shown]
	v_cndmask_b32_e64 v18, 0, -1, vcc_lo
	v_cmp_eq_u32_e32 vcc_lo, s29, v13
	v_cndmask_b32_e64 v6, v18, v6, s0
	v_cndmask_b32_e32 v13, v17, v16, vcc_lo
	v_add_co_u32 v16, vcc_lo, v2, 1
	v_add_co_ci_u32_e32 v17, vcc_lo, 0, v12, vcc_lo
	v_cmp_ne_u32_e32 vcc_lo, 0, v13
	v_cndmask_b32_e32 v7, v17, v15, vcc_lo
	v_cndmask_b32_e32 v13, v16, v14, vcc_lo
	v_cmp_ne_u32_e32 vcc_lo, 0, v6
	v_cndmask_b32_e32 v21, v12, v7, vcc_lo
	v_cndmask_b32_e32 v20, v2, v13, vcc_lo
.LBB0_4:                                ;   in Loop: Header=BB0_2 Depth=1
	s_andn2_saveexec_b32 s0, s1
	s_cbranch_execz .LBB0_6
; %bb.5:                                ;   in Loop: Header=BB0_2 Depth=1
	v_cvt_f32_u32_e32 v2, s28
	s_sub_i32 s1, 0, s28
	v_mov_b32_e32 v21, v5
	v_rcp_iflag_f32_e32 v2, v2
	v_mul_f32_e32 v2, 0x4f7ffffe, v2
	v_cvt_u32_f32_e32 v2, v2
	v_mul_lo_u32 v6, s1, v2
	v_mul_hi_u32 v6, v2, v6
	v_add_nc_u32_e32 v2, v2, v6
	v_mul_hi_u32 v2, v10, v2
	v_mul_lo_u32 v6, v2, s28
	v_add_nc_u32_e32 v7, 1, v2
	v_sub_nc_u32_e32 v6, v10, v6
	v_subrev_nc_u32_e32 v12, s28, v6
	v_cmp_le_u32_e32 vcc_lo, s28, v6
	v_cndmask_b32_e32 v6, v6, v12, vcc_lo
	v_cndmask_b32_e32 v2, v2, v7, vcc_lo
	v_cmp_le_u32_e32 vcc_lo, s28, v6
	v_add_nc_u32_e32 v7, 1, v2
	v_cndmask_b32_e32 v20, v2, v7, vcc_lo
.LBB0_6:                                ;   in Loop: Header=BB0_2 Depth=1
	s_or_b32 exec_lo, exec_lo, s0
	v_mul_lo_u32 v2, v21, s28
	v_mul_lo_u32 v12, v20, s29
	s_load_dwordx2 s[0:1], s[22:23], 0x0
	v_mad_u64_u32 v[6:7], null, v20, s28, 0
	s_load_dwordx2 s[28:29], s[6:7], 0x0
	s_add_u32 s26, s26, 1
	s_addc_u32 s27, s27, 0
	s_add_u32 s6, s6, 8
	s_addc_u32 s7, s7, 0
	s_add_u32 s22, s22, 8
	v_add3_u32 v2, v7, v12, v2
	v_sub_co_u32 v6, vcc_lo, v10, v6
	s_addc_u32 s23, s23, 0
	s_add_u32 s24, s24, 8
	v_sub_co_ci_u32_e32 v2, vcc_lo, v11, v2, vcc_lo
	s_addc_u32 s25, s25, 0
	s_waitcnt lgkmcnt(0)
	v_mul_lo_u32 v7, s0, v2
	v_mul_lo_u32 v10, s1, v6
	v_mad_u64_u32 v[3:4], null, s0, v6, v[3:4]
	v_mul_lo_u32 v2, s28, v2
	v_mul_lo_u32 v11, s29, v6
	v_mad_u64_u32 v[8:9], null, s28, v6, v[8:9]
	v_cmp_ge_u64_e64 s0, s[26:27], s[14:15]
	v_add3_u32 v4, v10, v4, v7
	v_add3_u32 v9, v11, v9, v2
	s_and_b32 vcc_lo, exec_lo, s0
	s_cbranch_vccnz .LBB0_8
; %bb.7:                                ;   in Loop: Header=BB0_2 Depth=1
	v_mov_b32_e32 v10, v20
	v_mov_b32_e32 v11, v21
	s_branch .LBB0_2
.LBB0_8:
	s_load_dwordx2 s[0:1], s[4:5], 0x28
	v_mul_hi_u32 v14, 0x1745d175, v0
	s_lshl_b64 s[6:7], s[14:15], 3
                                        ; implicit-def: $sgpr14
                                        ; implicit-def: $vgpr26
                                        ; implicit-def: $vgpr2
                                        ; implicit-def: $vgpr6
                                        ; implicit-def: $vgpr5
	s_add_u32 s4, s18, s6
	s_addc_u32 s5, s19, s7
	s_waitcnt lgkmcnt(0)
	v_cmp_gt_u64_e32 vcc_lo, s[0:1], v[20:21]
	v_cmp_le_u64_e64 s0, s[0:1], v[20:21]
	s_and_saveexec_b32 s1, s0
	s_xor_b32 s0, exec_lo, s1
; %bb.9:
	v_mul_u32_u24_e32 v2, 11, v14
	s_mov_b32 s14, 0
                                        ; implicit-def: $vgpr14
                                        ; implicit-def: $vgpr3_vgpr4
	v_sub_nc_u32_e32 v26, v0, v2
                                        ; implicit-def: $vgpr0
	v_add_nc_u32_e32 v2, 11, v26
	v_add_nc_u32_e32 v6, 22, v26
	;; [unrolled: 1-line block ×3, first 2 shown]
; %bb.10:
	s_or_saveexec_b32 s1, s0
	v_mov_b32_e32 v7, s14
	v_mov_b32_e32 v10, s14
	;; [unrolled: 1-line block ×5, first 2 shown]
                                        ; implicit-def: $vgpr15
                                        ; implicit-def: $vgpr19
                                        ; implicit-def: $vgpr16
                                        ; implicit-def: $vgpr17
                                        ; implicit-def: $vgpr18
	s_xor_b32 exec_lo, exec_lo, s1
	s_cbranch_execz .LBB0_12
; %bb.11:
	s_add_u32 s6, s16, s6
	s_addc_u32 s7, s17, s7
	v_mul_u32_u24_e32 v2, 11, v14
	s_load_dwordx2 s[6:7], s[6:7], 0x0
	v_lshlrev_b64 v[3:4], 2, v[3:4]
	v_sub_nc_u32_e32 v26, v0, v2
	v_mad_u64_u32 v[10:11], null, s20, v26, 0
	v_add_nc_u32_e32 v7, 55, v26
	v_add_nc_u32_e32 v2, 11, v26
	;; [unrolled: 1-line block ×5, first 2 shown]
	v_mad_u64_u32 v[12:13], null, s20, v7, 0
	v_mov_b32_e32 v0, v11
	v_mad_u64_u32 v[14:15], null, s20, v2, 0
	s_waitcnt lgkmcnt(0)
	v_mul_lo_u32 v11, s7, v20
	v_mul_lo_u32 v24, s6, v21
	v_mad_u64_u32 v[16:17], null, s6, v20, 0
	v_mad_u64_u32 v[18:19], null, s21, v26, v[0:1]
	v_mov_b32_e32 v0, v13
	v_mad_u64_u32 v[22:23], null, s20, v29, 0
	v_mov_b32_e32 v5, v15
	v_add3_u32 v17, v17, v24, v11
	v_mad_u64_u32 v[24:25], null, s21, v7, v[0:1]
	v_mad_u64_u32 v[27:28], null, s20, v6, 0
	v_lshlrev_b64 v[15:16], 2, v[16:17]
	v_mov_b32_e32 v11, v18
	v_mad_u64_u32 v[17:18], null, s21, v2, v[5:6]
	v_mov_b32_e32 v0, v23
	v_mov_b32_e32 v13, v24
	v_add_co_u32 v5, s0, s8, v15
	v_add_co_ci_u32_e64 v7, s0, s9, v16, s0
	v_mov_b32_e32 v15, v17
	v_add_co_u32 v37, s0, v5, v3
	v_add_co_ci_u32_e64 v7, s0, v7, v4, s0
	v_lshlrev_b64 v[3:4], 2, v[12:13]
	v_mad_u64_u32 v[12:13], null, s21, v29, v[0:1]
	v_mov_b32_e32 v0, v28
	v_lshlrev_b64 v[10:11], 2, v[10:11]
	v_add_nc_u32_e32 v5, 0x4d, v26
	v_lshlrev_b64 v[13:14], 2, v[14:15]
	v_add_nc_u32_e32 v25, 33, v26
	v_mad_u64_u32 v[15:16], null, s21, v6, v[0:1]
	v_mad_u64_u32 v[16:17], null, s20, v5, 0
	v_add_co_u32 v10, s0, v37, v10
	v_add_co_ci_u32_e64 v11, s0, v7, v11, s0
	v_add_co_u32 v3, s0, v37, v3
	v_add_co_ci_u32_e64 v4, s0, v7, v4, s0
	v_mov_b32_e32 v23, v12
	v_add_co_u32 v12, s0, v37, v13
	v_mov_b32_e32 v0, v17
	v_add_co_ci_u32_e64 v13, s0, v7, v14, s0
	v_mov_b32_e32 v28, v15
	v_mad_u64_u32 v[14:15], null, s20, v25, 0
	v_lshlrev_b64 v[18:19], 2, v[22:23]
	v_mad_u64_u32 v[22:23], null, s21, v5, v[0:1]
	v_mad_u64_u32 v[23:24], null, s20, v33, 0
	v_add_nc_u32_e32 v5, 44, v26
	v_mov_b32_e32 v0, v15
	v_add_co_u32 v29, s0, v37, v18
	v_add_co_ci_u32_e64 v30, s0, v7, v19, s0
	v_lshlrev_b64 v[18:19], 2, v[27:28]
	v_mov_b32_e32 v17, v22
	v_mad_u64_u32 v[27:28], null, s21, v25, v[0:1]
	v_mov_b32_e32 v0, v24
	v_add_nc_u32_e32 v22, 0x63, v26
	v_mad_u64_u32 v[31:32], null, s20, v5, 0
	v_add_co_u32 v35, s0, v37, v18
	v_mad_u64_u32 v[24:25], null, s21, v33, v[0:1]
	v_mad_u64_u32 v[33:34], null, s20, v22, 0
	v_mov_b32_e32 v0, v32
	v_add_co_ci_u32_e64 v36, s0, v7, v19, s0
	v_mov_b32_e32 v15, v27
	v_lshlrev_b64 v[16:17], 2, v[16:17]
	v_mad_u64_u32 v[18:19], null, s21, v5, v[0:1]
	v_mov_b32_e32 v0, v34
	v_lshlrev_b64 v[14:15], 2, v[14:15]
	v_add_co_u32 v16, s0, v37, v16
	v_mad_u64_u32 v[27:28], null, s21, v22, v[0:1]
	v_mov_b32_e32 v32, v18
	v_lshlrev_b64 v[22:23], 2, v[23:24]
	v_add_co_ci_u32_e64 v17, s0, v7, v17, s0
	v_add_co_u32 v14, s0, v37, v14
	v_mov_b32_e32 v34, v27
	v_lshlrev_b64 v[18:19], 2, v[31:32]
	v_add_co_ci_u32_e64 v15, s0, v7, v15, s0
	v_add_co_u32 v22, s0, v37, v22
	v_lshlrev_b64 v[24:25], 2, v[33:34]
	v_add_co_ci_u32_e64 v23, s0, v7, v23, s0
	v_add_co_u32 v27, s0, v37, v18
	v_add_co_ci_u32_e64 v28, s0, v7, v19, s0
	v_add_co_u32 v24, s0, v37, v24
	v_add_co_ci_u32_e64 v25, s0, v7, v25, s0
	s_clause 0x9
	global_load_dword v7, v[10:11], off
	global_load_dword v19, v[3:4], off
	;; [unrolled: 1-line block ×10, first 2 shown]
.LBB0_12:
	s_or_b32 exec_lo, exec_lo, s1
	v_mul_hi_u32 v0, 0x38e38e39, v1
	s_waitcnt vmcnt(8)
	v_pk_add_f16 v3, v7, v19 neg_lo:[0,1] neg_hi:[0,1]
	v_lshrrev_b32_e32 v4, 16, v7
	s_waitcnt vmcnt(6)
	v_pk_add_f16 v14, v10, v18 neg_lo:[0,1] neg_hi:[0,1]
	s_waitcnt vmcnt(4)
	v_pk_add_f16 v17, v11, v17 neg_lo:[0,1] neg_hi:[0,1]
	;; [unrolled: 2-line block ×3, first 2 shown]
	v_lshrrev_b32_e32 v18, 16, v3
	v_fma_f16 v7, v7, 2.0, -v3
	v_lshrrev_b32_e32 v0, 2, v0
	v_and_b32_e32 v19, 1, v26
	v_pk_fma_f16 v10, v10, 2.0, v14 op_sel_hi:[1,0,1] neg_lo:[0,0,1] neg_hi:[0,0,1]
	v_fma_f16 v4, v4, 2.0, -v18
	v_and_b32_e32 v18, 1, v2
	v_mul_lo_u32 v0, v0, 18
	s_load_dwordx2 s[4:5], s[4:5], 0x0
	v_cmp_gt_u32_e64 s0, 10, v26
	v_lshlrev_b32_e32 v4, 16, v4
	v_or_b32_sdwa v4, v4, v7 dst_sel:DWORD dst_unused:UNUSED_PAD src0_sel:DWORD src1_sel:WORD_0
	v_sub_nc_u32_e32 v0, v1, v0
	v_pk_add_f16 v1, v12, v16 neg_lo:[0,1] neg_hi:[0,1]
	v_mul_u32_u24_e32 v0, 0x6e, v0
	v_lshl_add_u32 v27, v0, 2, 0
	v_pk_fma_f16 v0, v11, 2.0, v17 op_sel_hi:[1,0,1] neg_lo:[0,0,1] neg_hi:[0,0,1]
	v_pk_fma_f16 v11, v12, 2.0, v1 op_sel_hi:[1,0,1] neg_lo:[0,0,1] neg_hi:[0,0,1]
	;; [unrolled: 1-line block ×3, first 2 shown]
	v_lshlrev_b32_e32 v13, 4, v19
	v_lshl_add_u32 v7, v26, 3, v27
	v_lshl_add_u32 v28, v2, 3, v27
	;; [unrolled: 1-line block ×4, first 2 shown]
	ds_write2_b32 v7, v4, v3 offset1:1
	ds_write2_b32 v28, v10, v14 offset1:1
	;; [unrolled: 1-line block ×3, first 2 shown]
	ds_write2_b32 v7, v11, v1 offset0:66 offset1:67
	ds_write2_b32 v30, v12, v15 offset1:1
	v_lshlrev_b32_e32 v0, 4, v18
	s_waitcnt lgkmcnt(0)
	s_barrier
	buffer_gl0_inv
	s_clause 0x1
	global_load_dwordx4 v[13:16], v13, s[12:13]
	global_load_dwordx4 v[22:25], v0, s[12:13]
	v_lshlrev_b32_e32 v0, 2, v26
	v_lshlrev_b32_e32 v3, 2, v6
	v_lshrrev_b32_e32 v6, 1, v2
	v_lshlrev_b32_e32 v2, 2, v2
	v_lshrrev_b32_e32 v4, 1, v26
	v_lshlrev_b32_e32 v5, 2, v5
	v_add_nc_u32_e32 v1, v27, v0
	v_sub_nc_u32_e32 v0, v7, v0
	v_sub_nc_u32_e32 v2, v28, v2
	v_mul_lo_u32 v17, v6, 10
	v_sub_nc_u32_e32 v6, v29, v3
	v_mul_u32_u24_e32 v10, 10, v4
	v_sub_nc_u32_e32 v28, v30, v5
	ds_read_b32 v12, v1
	ds_read_b32 v11, v2
	ds_read2_b32 v[2:3], v0 offset0:33 offset1:55
	ds_read2_b32 v[4:5], v0 offset0:66 offset1:77
	ds_read_b32 v31, v6
	ds_read2_b32 v[6:7], v0 offset0:88 offset1:99
	ds_read_b32 v28, v28
	v_or_b32_e32 v10, v10, v19
	v_or_b32_e32 v17, v17, v18
	v_lshl_add_u32 v38, v10, 2, v27
	ds_read_u16 v10, v0 offset:134
	v_lshl_add_u32 v39, v17, 2, v27
	s_waitcnt vmcnt(0) lgkmcnt(0)
	s_barrier
	buffer_gl0_inv
	v_lshrrev_b32_e32 v29, 16, v11
	v_lshrrev_b32_e32 v17, 16, v3
	;; [unrolled: 1-line block ×9, first 2 shown]
	v_mul_f16_sdwa v35, v13, v19 dst_sel:DWORD dst_unused:UNUSED_PAD src0_sel:WORD_1 src1_sel:DWORD
	v_mul_f16_sdwa v36, v13, v31 dst_sel:DWORD dst_unused:UNUSED_PAD src0_sel:WORD_1 src1_sel:DWORD
	;; [unrolled: 1-line block ×8, first 2 shown]
	v_mul_f16_sdwa v47, v17, v23 dst_sel:DWORD dst_unused:UNUSED_PAD src0_sel:DWORD src1_sel:WORD_1
	v_mul_f16_sdwa v48, v3, v23 dst_sel:DWORD dst_unused:UNUSED_PAD src0_sel:DWORD src1_sel:WORD_1
	;; [unrolled: 1-line block ×5, first 2 shown]
	v_mul_f16_sdwa v46, v22, v2 dst_sel:DWORD dst_unused:UNUSED_PAD src0_sel:WORD_1 src1_sel:DWORD
	v_mul_f16_sdwa v51, v27, v25 dst_sel:DWORD dst_unused:UNUSED_PAD src0_sel:DWORD src1_sel:WORD_1
	v_mul_f16_sdwa v52, v7, v25 dst_sel:DWORD dst_unused:UNUSED_PAD src0_sel:DWORD src1_sel:WORD_1
	v_fmac_f16_e32 v35, v13, v31
	v_fma_f16 v13, v13, v19, -v36
	v_fmac_f16_e32 v37, v14, v28
	v_fma_f16 v14, v14, v32, -v40
	;; [unrolled: 2-line block ×8, first 2 shown]
	v_add_f16_e32 v15, v37, v41
	v_sub_f16_e32 v17, v35, v37
	v_sub_f16_e32 v18, v43, v41
	;; [unrolled: 1-line block ×4, first 2 shown]
	v_add_f16_e32 v25, v30, v13
	v_add_f16_e32 v27, v14, v4
	v_sub_f16_e32 v28, v13, v14
	v_sub_f16_e32 v32, v6, v4
	v_add_f16_e32 v44, v47, v49
	v_add_f16_e32 v57, v3, v5
	;; [unrolled: 1-line block ×7, first 2 shown]
	v_sub_f16_e32 v16, v13, v6
	v_sub_f16_e32 v22, v14, v4
	;; [unrolled: 1-line block ×5, first 2 shown]
	v_add_f16_e32 v36, v11, v45
	v_sub_f16_e32 v46, v2, v7
	v_sub_f16_e32 v50, v45, v47
	;; [unrolled: 1-line block ×4, first 2 shown]
	v_fma_f16 v13, -0.5, v15, v12
	v_add_f16_e32 v15, v17, v18
	v_add_f16_e32 v23, v23, v24
	;; [unrolled: 1-line block ×3, first 2 shown]
	v_fma_f16 v31, -0.5, v27, v30
	v_add_f16_e32 v24, v28, v32
	v_fma_f16 v14, -0.5, v44, v11
	v_fma_f16 v32, -0.5, v57, v29
	v_sub_f16_e32 v42, v37, v41
	v_fmac_f16_e32 v12, -0.5, v19
	v_fmac_f16_e32 v30, -0.5, v33
	v_add_f16_e32 v56, v29, v2
	v_sub_f16_e32 v48, v3, v5
	v_sub_f16_e32 v58, v47, v49
	v_add_f16_e32 v10, v10, v37
	v_fmac_f16_e32 v11, -0.5, v53
	v_fmac_f16_e32 v29, -0.5, v61
	v_sub_f16_e32 v52, v51, v49
	v_sub_f16_e32 v59, v2, v3
	v_sub_f16_e32 v60, v7, v5
	v_add_f16_e32 v25, v34, v35
	v_fmamk_f16 v18, v16, 0xbb9c, v13
	v_add_f16_e32 v4, v17, v4
	v_fmamk_f16 v33, v40, 0x3b9c, v31
	v_fmamk_f16 v17, v46, 0xbb9c, v14
	;; [unrolled: 1-line block ×4, first 2 shown]
	v_fmac_f16_e32 v12, 0xbb9c, v22
	v_fmamk_f16 v34, v42, 0xbb9c, v30
	v_fmac_f16_e32 v30, 0x3b9c, v42
	v_fmac_f16_e32 v13, 0x3b9c, v16
	;; [unrolled: 1-line block ×3, first 2 shown]
	v_sub_f16_e32 v2, v3, v2
	v_add_f16_e32 v27, v36, v47
	v_add_f16_e32 v3, v56, v3
	v_sub_f16_e32 v55, v49, v51
	v_sub_f16_e32 v62, v5, v7
	v_add_f16_e32 v28, v10, v41
	v_fmamk_f16 v10, v48, 0x3b9c, v11
	v_fmac_f16_e32 v11, 0xbb9c, v48
	v_fmamk_f16 v36, v58, 0xbb9c, v29
	v_fmac_f16_e32 v29, 0x3b9c, v58
	v_add_f16_e32 v44, v50, v52
	v_add_f16_e32 v50, v59, v60
	v_fmac_f16_e32 v14, 0x3b9c, v46
	v_fmac_f16_e32 v32, 0xbb9c, v45
	;; [unrolled: 1-line block ×12, first 2 shown]
	v_add_f16_e32 v37, v27, v49
	v_add_f16_e32 v3, v3, v5
	;; [unrolled: 1-line block ×4, first 2 shown]
	v_fmac_f16_e32 v10, 0xb8b4, v46
	v_fmac_f16_e32 v11, 0x38b4, v46
	;; [unrolled: 1-line block ×4, first 2 shown]
	v_add_f16_e32 v27, v28, v43
	v_add_f16_e32 v28, v4, v6
	v_fmac_f16_e32 v14, 0x38b4, v48
	v_fmac_f16_e32 v32, 0xb8b4, v58
	;; [unrolled: 1-line block ×12, first 2 shown]
	v_add_f16_e32 v16, v37, v51
	v_add_f16_e32 v37, v3, v7
	v_fmac_f16_e32 v10, 0x34f2, v47
	v_fmac_f16_e32 v11, 0x34f2, v47
	;; [unrolled: 1-line block ×6, first 2 shown]
	v_pack_b32_f16 v2, v27, v28
	v_pack_b32_f16 v4, v18, v33
	;; [unrolled: 1-line block ×10, first 2 shown]
	ds_write2_b32 v38, v2, v4 offset1:2
	ds_write2_b32 v38, v5, v6 offset0:4 offset1:6
	ds_write_b32 v38, v7 offset:32
	ds_write2_b32 v39, v3, v15 offset1:2
	ds_write2_b32 v39, v22, v23 offset0:4 offset1:6
	ds_write_b32 v39, v24 offset:32
	s_waitcnt lgkmcnt(0)
	s_barrier
	buffer_gl0_inv
                                        ; implicit-def: $vgpr38
	s_and_saveexec_b32 s1, s0
	s_cbranch_execz .LBB0_14
; %bb.13:
	ds_read_b32 v27, v1
	ds_read2_b32 v[10:11], v0 offset0:70 offset1:80
	ds_read2_b32 v[14:15], v0 offset0:90 offset1:100
	;; [unrolled: 1-line block ×5, first 2 shown]
	s_waitcnt lgkmcnt(5)
	v_lshrrev_b32_e32 v28, 16, v27
	s_waitcnt lgkmcnt(4)
	v_lshrrev_b32_e32 v29, 16, v11
	;; [unrolled: 2-line block ×3, first 2 shown]
	v_lshrrev_b32_e32 v38, 16, v15
	s_waitcnt lgkmcnt(2)
	v_lshrrev_b32_e32 v33, 16, v18
	v_lshrrev_b32_e32 v34, 16, v19
	s_waitcnt lgkmcnt(1)
	v_lshrrev_b32_e32 v30, 16, v12
	;; [unrolled: 3-line block ×3, first 2 shown]
	v_lshrrev_b32_e32 v35, 16, v17
	v_lshrrev_b32_e32 v36, 16, v10
.LBB0_14:
	s_or_b32 exec_lo, exec_lo, s1
	v_cmp_gt_u32_e64 s1, 10, v26
	s_and_b32 s1, vcc_lo, s1
	s_and_saveexec_b32 s6, s1
	s_cbranch_execz .LBB0_16
; %bb.15:
	v_add_nc_u32_e32 v0, -10, v26
	v_mov_b32_e32 v1, 0
	v_add_nc_u32_e32 v41, 10, v26
	v_add_nc_u32_e32 v42, 20, v26
	;; [unrolled: 1-line block ×3, first 2 shown]
	v_cndmask_b32_e64 v0, v0, v26, s0
	v_mad_u64_u32 v[24:25], null, s2, v26, 0
	v_mad_u64_u32 v[45:46], null, s2, v41, 0
	v_mul_i32_i24_e32 v0, 10, v0
	v_mad_u64_u32 v[47:48], null, s2, v42, 0
	v_mul_lo_u32 v39, s5, v20
	v_mul_lo_u32 v40, s4, v21
	v_lshlrev_b64 v[0:1], 2, v[0:1]
	v_mad_u64_u32 v[20:21], null, s4, v20, 0
	v_add_nc_u32_e32 v44, 40, v26
	v_mad_u64_u32 v[49:50], null, s2, v43, 0
	v_add_co_u32 v4, vcc_lo, s12, v0
	v_add_co_ci_u32_e32 v5, vcc_lo, s13, v1, vcc_lo
	v_mad_u64_u32 v[51:52], null, s2, v44, 0
	v_mad_u64_u32 v[53:54], null, s3, v26, v[25:26]
	s_clause 0x2
	global_load_dwordx4 v[0:3], v[4:5], off offset:32
	global_load_dwordx2 v[22:23], v[4:5], off offset:64
	global_load_dwordx4 v[4:7], v[4:5], off offset:48
	v_mov_b32_e32 v25, v46
	v_mov_b32_e32 v46, v48
	v_add3_u32 v21, v21, v40, v39
	v_mov_b32_e32 v48, v50
	v_mov_b32_e32 v50, v52
	v_mad_u64_u32 v[54:55], null, s3, v41, v[25:26]
	v_mad_u64_u32 v[41:42], null, s3, v42, v[46:47]
	v_lshlrev_b64 v[20:21], 2, v[20:21]
	v_mad_u64_u32 v[42:43], null, s3, v43, v[48:49]
	v_lshlrev_b64 v[8:9], 2, v[8:9]
	v_mad_u64_u32 v[43:44], null, s3, v44, v[50:51]
	v_add_co_u32 v20, vcc_lo, s10, v20
	v_add_co_ci_u32_e32 v21, vcc_lo, s11, v21, vcc_lo
	v_mov_b32_e32 v25, v53
	v_mov_b32_e32 v46, v54
	;; [unrolled: 1-line block ×4, first 2 shown]
	v_add_co_u32 v44, vcc_lo, v20, v8
	v_add_co_ci_u32_e32 v53, vcc_lo, v21, v9, vcc_lo
	v_lshlrev_b64 v[8:9], 2, v[24:25]
	v_mov_b32_e32 v52, v43
	v_lshlrev_b64 v[20:21], 2, v[45:46]
	v_lshlrev_b64 v[24:25], 2, v[47:48]
	;; [unrolled: 1-line block ×3, first 2 shown]
	v_add_nc_u32_e32 v56, 50, v26
	v_add_co_u32 v8, vcc_lo, v44, v8
	v_add_co_ci_u32_e32 v9, vcc_lo, v53, v9, vcc_lo
	v_mad_u64_u32 v[39:40], null, s2, v56, 0
	v_add_co_u32 v20, vcc_lo, v44, v20
	v_add_co_ci_u32_e32 v21, vcc_lo, v53, v21, vcc_lo
	v_add_co_u32 v24, vcc_lo, v44, v24
	v_add_co_ci_u32_e32 v25, vcc_lo, v53, v25, vcc_lo
	s_waitcnt vmcnt(2)
	v_mul_f16_sdwa v43, v33, v0 dst_sel:DWORD dst_unused:UNUSED_PAD src0_sel:DWORD src1_sel:WORD_1
	s_waitcnt vmcnt(1)
	v_mul_f16_sdwa v46, v15, v23 dst_sel:DWORD dst_unused:UNUSED_PAD src0_sel:DWORD src1_sel:WORD_1
	v_mul_f16_sdwa v47, v18, v0 dst_sel:DWORD dst_unused:UNUSED_PAD src0_sel:DWORD src1_sel:WORD_1
	;; [unrolled: 1-line block ×7, first 2 shown]
	s_waitcnt vmcnt(0)
	v_mul_f16_sdwa v57, v29, v7 dst_sel:DWORD dst_unused:UNUSED_PAD src0_sel:DWORD src1_sel:WORD_1
	v_mul_f16_sdwa v58, v11, v7 dst_sel:DWORD dst_unused:UNUSED_PAD src0_sel:DWORD src1_sel:WORD_1
	;; [unrolled: 1-line block ×4, first 2 shown]
	v_fmac_f16_e32 v43, v18, v0
	v_fmac_f16_e32 v49, v14, v22
	v_fma_f16 v14, v38, v23, -v46
	v_fma_f16 v0, v33, v0, -v47
	v_mul_f16_sdwa v55, v30, v2 dst_sel:DWORD dst_unused:UNUSED_PAD src0_sel:DWORD src1_sel:WORD_1
	v_mul_f16_sdwa v59, v12, v2 dst_sel:DWORD dst_unused:UNUSED_PAD src0_sel:DWORD src1_sel:WORD_1
	;; [unrolled: 1-line block ×8, first 2 shown]
	v_fmac_f16_e32 v48, v19, v1
	v_fmac_f16_e32 v45, v15, v23
	v_fma_f16 v15, v32, v22, -v50
	v_fma_f16 v1, v34, v1, -v54
	v_fmac_f16_e32 v57, v11, v7
	v_fma_f16 v7, v29, v7, -v58
	v_fmac_f16_e32 v60, v13, v3
	v_fma_f16 v3, v31, v3, -v63
	v_add_f16_e32 v11, v0, v14
	v_sub_f16_e32 v29, v0, v14
	v_add_f16_e32 v0, v28, v0
	v_add_f16_e32 v31, v27, v43
	v_fmac_f16_e32 v55, v12, v2
	v_fma_f16 v2, v30, v2, -v59
	v_fmac_f16_e32 v61, v10, v6
	v_fma_f16 v6, v36, v6, -v62
	v_fmac_f16_e32 v64, v16, v4
	v_fmac_f16_e32 v65, v17, v5
	v_fma_f16 v5, v35, v5, -v66
	v_fma_f16 v4, v37, v4, -v67
	v_add_f16_e32 v13, v1, v15
	v_sub_f16_e32 v32, v1, v15
	v_add_f16_e32 v0, v0, v1
	v_add_f16_e32 v1, v31, v48
	v_sub_f16_e32 v10, v43, v45
	v_sub_f16_e32 v12, v48, v49
	;; [unrolled: 1-line block ×3, first 2 shown]
	v_add_f16_e32 v17, v2, v7
	v_sub_f16_e32 v18, v60, v61
	v_add_f16_e32 v19, v3, v6
	v_sub_f16_e32 v22, v64, v65
	v_add_f16_e32 v23, v4, v5
	v_add_f16_e32 v0, v0, v2
	;; [unrolled: 1-line block ×4, first 2 shown]
	v_mul_f16_e32 v46, 0xbb47, v10
	v_mul_f16_e32 v47, 0xba0c, v12
	;; [unrolled: 1-line block ×30, first 2 shown]
	v_add_f16_e32 v1, v1, v60
	v_add_f16_e32 v0, v0, v3
	;; [unrolled: 1-line block ×3, first 2 shown]
	v_sub_f16_e32 v34, v2, v7
	v_mul_f16_e32 v31, 0x3853, v32
	v_mul_f16_e32 v48, 0xba0c, v32
	;; [unrolled: 1-line block ×5, first 2 shown]
	v_fmamk_f16 v101, v11, 0x36a6, v46
	v_fmamk_f16 v102, v13, 0xb93d, v47
	;; [unrolled: 1-line block ×7, first 2 shown]
	v_fma_f16 v63, v11, 0xbbad, -v63
	v_fma_f16 v58, v11, 0xb93d, -v58
	;; [unrolled: 1-line block ×4, first 2 shown]
	v_fmamk_f16 v46, v13, 0x3abb, v66
	v_fma_f16 v66, v13, 0x3abb, -v66
	v_fma_f16 v59, v13, 0xb08e, -v59
	;; [unrolled: 1-line block ×4, first 2 shown]
	v_fmamk_f16 v47, v10, 0x3853, v68
	v_fmac_f16_e32 v68, 0xb853, v10
	v_fmamk_f16 v10, v12, 0x3b47, v69
	v_fmac_f16_e32 v69, 0xbb47, v12
	v_fmamk_f16 v12, v17, 0xb93d, v67
	v_fma_f16 v67, v17, 0xb93d, -v67
	v_fmamk_f16 v108, v17, 0x3abb, v62
	v_fma_f16 v62, v17, 0x3abb, -v62
	v_fmamk_f16 v109, v17, 0x36a6, v70
	v_fma_f16 v70, v17, 0x36a6, -v70
	v_fmamk_f16 v110, v17, 0xbbad, v71
	v_fma_f16 v17, v17, 0xbbad, -v71
	v_fmamk_f16 v71, v16, 0x3beb, v72
	v_fmac_f16_e32 v72, 0xbbeb, v16
	v_fmamk_f16 v16, v19, 0x36a6, v73
	v_fma_f16 v73, v19, 0x36a6, -v73
	v_fmamk_f16 v111, v19, 0xbbad, v74
	v_fma_f16 v74, v19, 0xbbad, -v74
	v_fmamk_f16 v112, v19, 0x3abb, v75
	v_fma_f16 v75, v19, 0x3abb, -v75
	v_fmamk_f16 v113, v19, 0xb08e, v76
	v_fma_f16 v19, v19, 0xb08e, -v76
	;; [unrolled: 10-line block ×3, first 2 shown]
	v_fmamk_f16 v81, v22, 0x3482, v82
	v_fmac_f16_e32 v82, 0xb482, v22
	v_fma_f16 v22, v30, 0xbbad, -v86
	v_fmamk_f16 v120, v30, 0x3abb, v29
	v_add_f16_e32 v1, v1, v64
	v_add_f16_e32 v0, v0, v4
	;; [unrolled: 1-line block ×3, first 2 shown]
	v_sub_f16_e32 v36, v3, v6
	v_mul_f16_e32 v89, 0xba0c, v34
	v_mul_f16_e32 v90, 0x3482, v34
	;; [unrolled: 1-line block ×5, first 2 shown]
	v_fmac_f16_e32 v86, 0xbbad, v30
	v_fma_f16 v117, v30, 0xb93d, -v85
	v_fmac_f16_e32 v85, 0xb93d, v30
	v_fma_f16 v118, v30, 0xb08e, -v84
	;; [unrolled: 2-line block ×4, first 2 shown]
	v_fma_f16 v30, v33, 0x3abb, -v31
	v_fmamk_f16 v124, v33, 0x36a6, v32
	v_add_f16_e32 v3, v28, v101
	v_add_f16_e32 v101, v28, v107
	;; [unrolled: 1-line block ×9, first 2 shown]
	v_sub_f16_e32 v38, v4, v5
	v_mul_f16_e32 v93, 0x3beb, v36
	v_mul_f16_e32 v94, 0xb482, v36
	;; [unrolled: 1-line block ×5, first 2 shown]
	v_fma_f16 v123, v33, 0xb93d, -v48
	v_fmac_f16_e32 v48, 0xb93d, v33
	v_fma_f16 v2, v35, 0xb93d, -v89
	v_fmamk_f16 v126, v35, 0xb08e, v34
	v_add_f16_e32 v83, v27, v83
	v_add_f16_e32 v3, v3, v102
	;; [unrolled: 1-line block ×10, first 2 shown]
	v_mul_f16_e32 v97, 0x3853, v38
	v_mul_f16_e32 v98, 0xba0c, v38
	;; [unrolled: 1-line block ×5, first 2 shown]
	v_fmac_f16_e32 v31, 0x3abb, v33
	v_fma_f16 v121, v33, 0xb08e, -v87
	v_fmac_f16_e32 v87, 0xb08e, v33
	v_fma_f16 v122, v33, 0xbbad, -v88
	;; [unrolled: 2-line block ×7, first 2 shown]
	v_fma_f16 v35, v37, 0x36a6, -v95
	v_fmamk_f16 v130, v37, 0xb93d, v36
	v_add_f16_e32 v13, v83, v48
	v_add_f16_e32 v3, v3, v110
	;; [unrolled: 1-line block ×11, first 2 shown]
	v_fmac_f16_e32 v95, 0x36a6, v37
	v_fma_f16 v127, v37, 0xbbad, -v94
	v_fmac_f16_e32 v94, 0xbbad, v37
	v_fma_f16 v128, v37, 0x3abb, -v96
	;; [unrolled: 2-line block ×4, first 2 shown]
	v_fma_f16 v37, v43, 0xb08e, -v100
	v_fmac_f16_e32 v100, 0xb08e, v43
	v_fma_f16 v131, v43, 0x36a6, -v99
	v_fmac_f16_e32 v99, 0x36a6, v43
	v_fma_f16 v132, v43, 0xb93d, -v98
	v_fmac_f16_e32 v98, 0xb93d, v43
	v_fma_f16 v133, v43, 0x3abb, -v97
	v_fmac_f16_e32 v97, 0x3abb, v43
	v_fmamk_f16 v134, v43, 0xbbad, v38
	v_fma_f16 v38, v43, 0xbbad, -v38
	v_add_f16_e32 v43, v28, v103
	v_add_f16_e32 v60, v28, v105
	;; [unrolled: 1-line block ×40, first 2 shown]
	v_pack_b32_f16 v0, v1, v0
	v_pack_b32_f16 v1, v3, v2
	v_add_f16_e32 v2, v13, v97
	v_add_f16_e32 v22, v30, v67
	;; [unrolled: 1-line block ×9, first 2 shown]
	global_store_dword v[8:9], v0, off
	global_store_dword v[20:21], v1, off
	v_pack_b32_f16 v8, v2, v6
	v_mov_b32_e32 v2, v40
	v_add_co_u32 v3, vcc_lo, v44, v41
	v_add_f16_e32 v16, v22, v73
	v_add_f16_e32 v22, v30, v95
	;; [unrolled: 1-line block ×7, first 2 shown]
	v_lshlrev_b64 v[0:1], 2, v[51:52]
	v_add_f16_e32 v23, v5, v38
	v_mad_u64_u32 v[5:6], null, s3, v56, v[2:3]
	v_add_f16_e32 v7, v30, v79
	v_add_f16_e32 v15, v31, v99
	;; [unrolled: 1-line block ×3, first 2 shown]
	v_add_co_ci_u32_e32 v4, vcc_lo, v53, v42, vcc_lo
	v_pack_b32_f16 v2, v14, v10
	global_store_dword v[24:25], v8, off
	v_add_nc_u32_e32 v8, 60, v26
	v_add_nc_u32_e32 v10, 0x46, v26
	v_add_co_u32 v0, vcc_lo, v44, v0
	v_add_co_ci_u32_e32 v1, vcc_lo, v53, v1, vcc_lo
	v_pack_b32_f16 v6, v15, v7
	v_or_b32_e32 v13, 0x50, v26
	v_mov_b32_e32 v40, v5
	global_store_dword v[3:4], v2, off
	v_mad_u64_u32 v[2:3], null, s2, v8, 0
	v_mad_u64_u32 v[4:5], null, s2, v10, 0
	global_store_dword v[0:1], v6, off
	v_mad_u64_u32 v[6:7], null, s2, v13, 0
	v_lshlrev_b64 v[0:1], 2, v[39:40]
	v_add_nc_u32_e32 v15, 0x5a, v26
	v_add_f16_e32 v16, v16, v78
	v_mad_u64_u32 v[8:9], null, s3, v8, v[3:4]
	v_add_f16_e32 v22, v22, v100
	v_mad_u64_u32 v[9:10], null, s3, v10, v[5:6]
	v_mov_b32_e32 v5, v7
	v_mad_u64_u32 v[10:11], null, s2, v15, 0
	v_add_co_u32 v0, vcc_lo, v44, v0
	v_mov_b32_e32 v3, v8
	v_mad_u64_u32 v[7:8], null, s3, v13, v[5:6]
	v_add_nc_u32_e32 v13, 0x64, v26
	v_add_co_ci_u32_e32 v1, vcc_lo, v53, v1, vcc_lo
	v_pack_b32_f16 v14, v22, v16
	v_mov_b32_e32 v5, v9
	v_mad_u64_u32 v[8:9], null, s2, v13, 0
	v_add_f16_e32 v29, v68, v123
	global_store_dword v[0:1], v14, off
	v_lshlrev_b64 v[0:1], 2, v[2:3]
	v_mov_b32_e32 v2, v11
	v_lshlrev_b64 v[4:5], 2, v[4:5]
	v_add_f16_e32 v43, v43, v104
	v_add_f16_e32 v68, v103, v122
	;; [unrolled: 1-line block ×3, first 2 shown]
	v_mad_u64_u32 v[2:3], null, s3, v15, v[2:3]
	v_mov_b32_e32 v3, v9
	v_add_f16_e32 v102, v105, v121
	v_pack_b32_f16 v14, v18, v12
	v_add_f16_e32 v28, v29, v125
	v_add_f16_e32 v29, v43, v109
	v_mad_u64_u32 v[12:13], null, s3, v13, v[3:4]
	v_add_f16_e32 v32, v68, v55
	v_add_f16_e32 v43, v60, v108
	;; [unrolled: 1-line block ×3, first 2 shown]
	v_add_co_u32 v0, vcc_lo, v44, v0
	v_mov_b32_e32 v11, v2
	v_add_co_ci_u32_e32 v1, vcc_lo, v53, v1, vcc_lo
	v_lshlrev_b64 v[6:7], 2, v[6:7]
	v_add_f16_e32 v27, v28, v129
	v_add_f16_e32 v28, v29, v112
	;; [unrolled: 1-line block ×5, first 2 shown]
	v_add_co_u32 v2, vcc_lo, v44, v4
	v_mov_b32_e32 v9, v12
	v_add_co_ci_u32_e32 v3, vcc_lo, v53, v5, vcc_lo
	v_lshlrev_b64 v[4:5], 2, v[10:11]
	v_add_f16_e32 v32, v32, v114
	v_add_f16_e32 v33, v33, v131
	v_add_co_u32 v6, vcc_lo, v44, v6
	v_lshlrev_b64 v[8:9], 2, v[8:9]
	v_add_f16_e32 v28, v28, v115
	v_add_f16_e32 v29, v29, v132
	;; [unrolled: 1-line block ×3, first 2 shown]
	v_add_co_ci_u32_e32 v7, vcc_lo, v53, v7, vcc_lo
	v_add_co_u32 v4, vcc_lo, v44, v4
	v_pack_b32_f16 v13, v33, v32
	v_add_co_ci_u32_e32 v5, vcc_lo, v53, v5, vcc_lo
	v_pack_b32_f16 v10, v29, v28
	v_add_co_u32 v8, vcc_lo, v44, v8
	v_pack_b32_f16 v11, v27, v19
	v_add_co_ci_u32_e32 v9, vcc_lo, v53, v9, vcc_lo
	v_pack_b32_f16 v12, v23, v17
	global_store_dword v[0:1], v14, off
	global_store_dword v[2:3], v13, off
	;; [unrolled: 1-line block ×5, first 2 shown]
.LBB0_16:
	s_endpgm
	.section	.rodata,"a",@progbits
	.p2align	6, 0x0
	.amdhsa_kernel fft_rtc_back_len110_factors_2_5_11_wgs_198_tpt_11_half_op_CI_CI_sbrr_dirReg
		.amdhsa_group_segment_fixed_size 0
		.amdhsa_private_segment_fixed_size 0
		.amdhsa_kernarg_size 104
		.amdhsa_user_sgpr_count 6
		.amdhsa_user_sgpr_private_segment_buffer 1
		.amdhsa_user_sgpr_dispatch_ptr 0
		.amdhsa_user_sgpr_queue_ptr 0
		.amdhsa_user_sgpr_kernarg_segment_ptr 1
		.amdhsa_user_sgpr_dispatch_id 0
		.amdhsa_user_sgpr_flat_scratch_init 0
		.amdhsa_user_sgpr_private_segment_size 0
		.amdhsa_wavefront_size32 1
		.amdhsa_uses_dynamic_stack 0
		.amdhsa_system_sgpr_private_segment_wavefront_offset 0
		.amdhsa_system_sgpr_workgroup_id_x 1
		.amdhsa_system_sgpr_workgroup_id_y 0
		.amdhsa_system_sgpr_workgroup_id_z 0
		.amdhsa_system_sgpr_workgroup_info 0
		.amdhsa_system_vgpr_workitem_id 0
		.amdhsa_next_free_vgpr 135
		.amdhsa_next_free_sgpr 31
		.amdhsa_reserve_vcc 1
		.amdhsa_reserve_flat_scratch 0
		.amdhsa_float_round_mode_32 0
		.amdhsa_float_round_mode_16_64 0
		.amdhsa_float_denorm_mode_32 3
		.amdhsa_float_denorm_mode_16_64 3
		.amdhsa_dx10_clamp 1
		.amdhsa_ieee_mode 1
		.amdhsa_fp16_overflow 0
		.amdhsa_workgroup_processor_mode 1
		.amdhsa_memory_ordered 1
		.amdhsa_forward_progress 0
		.amdhsa_shared_vgpr_count 0
		.amdhsa_exception_fp_ieee_invalid_op 0
		.amdhsa_exception_fp_denorm_src 0
		.amdhsa_exception_fp_ieee_div_zero 0
		.amdhsa_exception_fp_ieee_overflow 0
		.amdhsa_exception_fp_ieee_underflow 0
		.amdhsa_exception_fp_ieee_inexact 0
		.amdhsa_exception_int_div_zero 0
	.end_amdhsa_kernel
	.text
.Lfunc_end0:
	.size	fft_rtc_back_len110_factors_2_5_11_wgs_198_tpt_11_half_op_CI_CI_sbrr_dirReg, .Lfunc_end0-fft_rtc_back_len110_factors_2_5_11_wgs_198_tpt_11_half_op_CI_CI_sbrr_dirReg
                                        ; -- End function
	.section	.AMDGPU.csdata,"",@progbits
; Kernel info:
; codeLenInByte = 6728
; NumSgprs: 33
; NumVgprs: 135
; ScratchSize: 0
; MemoryBound: 0
; FloatMode: 240
; IeeeMode: 1
; LDSByteSize: 0 bytes/workgroup (compile time only)
; SGPRBlocks: 4
; VGPRBlocks: 16
; NumSGPRsForWavesPerEU: 33
; NumVGPRsForWavesPerEU: 135
; Occupancy: 7
; WaveLimiterHint : 1
; COMPUTE_PGM_RSRC2:SCRATCH_EN: 0
; COMPUTE_PGM_RSRC2:USER_SGPR: 6
; COMPUTE_PGM_RSRC2:TRAP_HANDLER: 0
; COMPUTE_PGM_RSRC2:TGID_X_EN: 1
; COMPUTE_PGM_RSRC2:TGID_Y_EN: 0
; COMPUTE_PGM_RSRC2:TGID_Z_EN: 0
; COMPUTE_PGM_RSRC2:TIDIG_COMP_CNT: 0
	.text
	.p2alignl 6, 3214868480
	.fill 48, 4, 3214868480
	.type	__hip_cuid_276937dfb60f0b08,@object ; @__hip_cuid_276937dfb60f0b08
	.section	.bss,"aw",@nobits
	.globl	__hip_cuid_276937dfb60f0b08
__hip_cuid_276937dfb60f0b08:
	.byte	0                               ; 0x0
	.size	__hip_cuid_276937dfb60f0b08, 1

	.ident	"AMD clang version 19.0.0git (https://github.com/RadeonOpenCompute/llvm-project roc-6.4.0 25133 c7fe45cf4b819c5991fe208aaa96edf142730f1d)"
	.section	".note.GNU-stack","",@progbits
	.addrsig
	.addrsig_sym __hip_cuid_276937dfb60f0b08
	.amdgpu_metadata
---
amdhsa.kernels:
  - .args:
      - .actual_access:  read_only
        .address_space:  global
        .offset:         0
        .size:           8
        .value_kind:     global_buffer
      - .offset:         8
        .size:           8
        .value_kind:     by_value
      - .actual_access:  read_only
        .address_space:  global
        .offset:         16
        .size:           8
        .value_kind:     global_buffer
      - .actual_access:  read_only
        .address_space:  global
        .offset:         24
        .size:           8
        .value_kind:     global_buffer
      - .actual_access:  read_only
        .address_space:  global
        .offset:         32
        .size:           8
        .value_kind:     global_buffer
      - .offset:         40
        .size:           8
        .value_kind:     by_value
      - .actual_access:  read_only
        .address_space:  global
        .offset:         48
        .size:           8
        .value_kind:     global_buffer
      - .actual_access:  read_only
        .address_space:  global
        .offset:         56
        .size:           8
        .value_kind:     global_buffer
      - .offset:         64
        .size:           4
        .value_kind:     by_value
      - .actual_access:  read_only
        .address_space:  global
        .offset:         72
        .size:           8
        .value_kind:     global_buffer
      - .actual_access:  read_only
        .address_space:  global
        .offset:         80
        .size:           8
        .value_kind:     global_buffer
      - .actual_access:  read_only
        .address_space:  global
        .offset:         88
        .size:           8
        .value_kind:     global_buffer
      - .actual_access:  write_only
        .address_space:  global
        .offset:         96
        .size:           8
        .value_kind:     global_buffer
    .group_segment_fixed_size: 0
    .kernarg_segment_align: 8
    .kernarg_segment_size: 104
    .language:       OpenCL C
    .language_version:
      - 2
      - 0
    .max_flat_workgroup_size: 198
    .name:           fft_rtc_back_len110_factors_2_5_11_wgs_198_tpt_11_half_op_CI_CI_sbrr_dirReg
    .private_segment_fixed_size: 0
    .sgpr_count:     33
    .sgpr_spill_count: 0
    .symbol:         fft_rtc_back_len110_factors_2_5_11_wgs_198_tpt_11_half_op_CI_CI_sbrr_dirReg.kd
    .uniform_work_group_size: 1
    .uses_dynamic_stack: false
    .vgpr_count:     135
    .vgpr_spill_count: 0
    .wavefront_size: 32
    .workgroup_processor_mode: 1
amdhsa.target:   amdgcn-amd-amdhsa--gfx1030
amdhsa.version:
  - 1
  - 2
...

	.end_amdgpu_metadata
